;; amdgpu-corpus repo=ROCm/rocFFT kind=compiled arch=gfx906 opt=O3
	.text
	.amdgcn_target "amdgcn-amd-amdhsa--gfx906"
	.amdhsa_code_object_version 6
	.protected	fft_rtc_fwd_len1300_factors_10_10_13_wgs_130_tpt_130_sp_ip_CI_unitstride_sbrr_R2C_dirReg ; -- Begin function fft_rtc_fwd_len1300_factors_10_10_13_wgs_130_tpt_130_sp_ip_CI_unitstride_sbrr_R2C_dirReg
	.globl	fft_rtc_fwd_len1300_factors_10_10_13_wgs_130_tpt_130_sp_ip_CI_unitstride_sbrr_R2C_dirReg
	.p2align	8
	.type	fft_rtc_fwd_len1300_factors_10_10_13_wgs_130_tpt_130_sp_ip_CI_unitstride_sbrr_R2C_dirReg,@function
fft_rtc_fwd_len1300_factors_10_10_13_wgs_130_tpt_130_sp_ip_CI_unitstride_sbrr_R2C_dirReg: ; @fft_rtc_fwd_len1300_factors_10_10_13_wgs_130_tpt_130_sp_ip_CI_unitstride_sbrr_R2C_dirReg
; %bb.0:
	s_load_dwordx2 s[2:3], s[4:5], 0x50
	s_load_dwordx4 s[8:11], s[4:5], 0x0
	s_load_dwordx2 s[12:13], s[4:5], 0x18
	v_mul_u32_u24_e32 v1, 0x1f9, v0
	v_add_u32_sdwa v5, s6, v1 dst_sel:DWORD dst_unused:UNUSED_PAD src0_sel:DWORD src1_sel:WORD_1
	v_mov_b32_e32 v3, 0
	s_waitcnt lgkmcnt(0)
	v_cmp_lt_u64_e64 s[0:1], s[10:11], 2
	v_mov_b32_e32 v1, 0
	v_mov_b32_e32 v6, v3
	s_and_b64 vcc, exec, s[0:1]
	v_mov_b32_e32 v2, 0
	s_cbranch_vccnz .LBB0_8
; %bb.1:
	s_load_dwordx2 s[0:1], s[4:5], 0x10
	s_add_u32 s6, s12, 8
	s_addc_u32 s7, s13, 0
	v_mov_b32_e32 v1, 0
	v_mov_b32_e32 v2, 0
	s_waitcnt lgkmcnt(0)
	s_add_u32 s14, s0, 8
	s_addc_u32 s15, s1, 0
	s_mov_b64 s[16:17], 1
.LBB0_2:                                ; =>This Inner Loop Header: Depth=1
	s_load_dwordx2 s[18:19], s[14:15], 0x0
                                        ; implicit-def: $vgpr7_vgpr8
	s_waitcnt lgkmcnt(0)
	v_or_b32_e32 v4, s19, v6
	v_cmp_ne_u64_e32 vcc, 0, v[3:4]
	s_and_saveexec_b64 s[0:1], vcc
	s_xor_b64 s[20:21], exec, s[0:1]
	s_cbranch_execz .LBB0_4
; %bb.3:                                ;   in Loop: Header=BB0_2 Depth=1
	v_cvt_f32_u32_e32 v4, s18
	v_cvt_f32_u32_e32 v7, s19
	s_sub_u32 s0, 0, s18
	s_subb_u32 s1, 0, s19
	v_mac_f32_e32 v4, 0x4f800000, v7
	v_rcp_f32_e32 v4, v4
	v_mul_f32_e32 v4, 0x5f7ffffc, v4
	v_mul_f32_e32 v7, 0x2f800000, v4
	v_trunc_f32_e32 v7, v7
	v_mac_f32_e32 v4, 0xcf800000, v7
	v_cvt_u32_f32_e32 v7, v7
	v_cvt_u32_f32_e32 v4, v4
	v_mul_lo_u32 v8, s0, v7
	v_mul_hi_u32 v9, s0, v4
	v_mul_lo_u32 v11, s1, v4
	v_mul_lo_u32 v10, s0, v4
	v_add_u32_e32 v8, v9, v8
	v_add_u32_e32 v8, v8, v11
	v_mul_hi_u32 v9, v4, v10
	v_mul_lo_u32 v11, v4, v8
	v_mul_hi_u32 v13, v4, v8
	v_mul_hi_u32 v12, v7, v10
	v_mul_lo_u32 v10, v7, v10
	v_mul_hi_u32 v14, v7, v8
	v_add_co_u32_e32 v9, vcc, v9, v11
	v_addc_co_u32_e32 v11, vcc, 0, v13, vcc
	v_mul_lo_u32 v8, v7, v8
	v_add_co_u32_e32 v9, vcc, v9, v10
	v_addc_co_u32_e32 v9, vcc, v11, v12, vcc
	v_addc_co_u32_e32 v10, vcc, 0, v14, vcc
	v_add_co_u32_e32 v8, vcc, v9, v8
	v_addc_co_u32_e32 v9, vcc, 0, v10, vcc
	v_add_co_u32_e32 v4, vcc, v4, v8
	v_addc_co_u32_e32 v7, vcc, v7, v9, vcc
	v_mul_lo_u32 v8, s0, v7
	v_mul_hi_u32 v9, s0, v4
	v_mul_lo_u32 v10, s1, v4
	v_mul_lo_u32 v11, s0, v4
	v_add_u32_e32 v8, v9, v8
	v_add_u32_e32 v8, v8, v10
	v_mul_lo_u32 v12, v4, v8
	v_mul_hi_u32 v13, v4, v11
	v_mul_hi_u32 v14, v4, v8
	;; [unrolled: 1-line block ×3, first 2 shown]
	v_mul_lo_u32 v11, v7, v11
	v_mul_hi_u32 v9, v7, v8
	v_add_co_u32_e32 v12, vcc, v13, v12
	v_addc_co_u32_e32 v13, vcc, 0, v14, vcc
	v_mul_lo_u32 v8, v7, v8
	v_add_co_u32_e32 v11, vcc, v12, v11
	v_addc_co_u32_e32 v10, vcc, v13, v10, vcc
	v_addc_co_u32_e32 v9, vcc, 0, v9, vcc
	v_add_co_u32_e32 v8, vcc, v10, v8
	v_addc_co_u32_e32 v9, vcc, 0, v9, vcc
	v_add_co_u32_e32 v4, vcc, v4, v8
	v_addc_co_u32_e32 v9, vcc, v7, v9, vcc
	v_mad_u64_u32 v[7:8], s[0:1], v5, v9, 0
	v_mul_hi_u32 v10, v5, v4
	v_add_co_u32_e32 v11, vcc, v10, v7
	v_addc_co_u32_e32 v12, vcc, 0, v8, vcc
	v_mad_u64_u32 v[7:8], s[0:1], v6, v4, 0
	v_mad_u64_u32 v[9:10], s[0:1], v6, v9, 0
	v_add_co_u32_e32 v4, vcc, v11, v7
	v_addc_co_u32_e32 v4, vcc, v12, v8, vcc
	v_addc_co_u32_e32 v7, vcc, 0, v10, vcc
	v_add_co_u32_e32 v4, vcc, v4, v9
	v_addc_co_u32_e32 v9, vcc, 0, v7, vcc
	v_mul_lo_u32 v10, s19, v4
	v_mul_lo_u32 v11, s18, v9
	v_mad_u64_u32 v[7:8], s[0:1], s18, v4, 0
	v_add3_u32 v8, v8, v11, v10
	v_sub_u32_e32 v10, v6, v8
	v_mov_b32_e32 v11, s19
	v_sub_co_u32_e32 v7, vcc, v5, v7
	v_subb_co_u32_e64 v10, s[0:1], v10, v11, vcc
	v_subrev_co_u32_e64 v11, s[0:1], s18, v7
	v_subbrev_co_u32_e64 v10, s[0:1], 0, v10, s[0:1]
	v_cmp_le_u32_e64 s[0:1], s19, v10
	v_cndmask_b32_e64 v12, 0, -1, s[0:1]
	v_cmp_le_u32_e64 s[0:1], s18, v11
	v_cndmask_b32_e64 v11, 0, -1, s[0:1]
	v_cmp_eq_u32_e64 s[0:1], s19, v10
	v_cndmask_b32_e64 v10, v12, v11, s[0:1]
	v_add_co_u32_e64 v11, s[0:1], 2, v4
	v_addc_co_u32_e64 v12, s[0:1], 0, v9, s[0:1]
	v_add_co_u32_e64 v13, s[0:1], 1, v4
	v_addc_co_u32_e64 v14, s[0:1], 0, v9, s[0:1]
	v_subb_co_u32_e32 v8, vcc, v6, v8, vcc
	v_cmp_ne_u32_e64 s[0:1], 0, v10
	v_cmp_le_u32_e32 vcc, s19, v8
	v_cndmask_b32_e64 v10, v14, v12, s[0:1]
	v_cndmask_b32_e64 v12, 0, -1, vcc
	v_cmp_le_u32_e32 vcc, s18, v7
	v_cndmask_b32_e64 v7, 0, -1, vcc
	v_cmp_eq_u32_e32 vcc, s19, v8
	v_cndmask_b32_e32 v7, v12, v7, vcc
	v_cmp_ne_u32_e32 vcc, 0, v7
	v_cndmask_b32_e64 v7, v13, v11, s[0:1]
	v_cndmask_b32_e32 v8, v9, v10, vcc
	v_cndmask_b32_e32 v7, v4, v7, vcc
.LBB0_4:                                ;   in Loop: Header=BB0_2 Depth=1
	s_andn2_saveexec_b64 s[0:1], s[20:21]
	s_cbranch_execz .LBB0_6
; %bb.5:                                ;   in Loop: Header=BB0_2 Depth=1
	v_cvt_f32_u32_e32 v4, s18
	s_sub_i32 s20, 0, s18
	v_rcp_iflag_f32_e32 v4, v4
	v_mul_f32_e32 v4, 0x4f7ffffe, v4
	v_cvt_u32_f32_e32 v4, v4
	v_mul_lo_u32 v7, s20, v4
	v_mul_hi_u32 v7, v4, v7
	v_add_u32_e32 v4, v4, v7
	v_mul_hi_u32 v4, v5, v4
	v_mul_lo_u32 v7, v4, s18
	v_add_u32_e32 v8, 1, v4
	v_sub_u32_e32 v7, v5, v7
	v_subrev_u32_e32 v9, s18, v7
	v_cmp_le_u32_e32 vcc, s18, v7
	v_cndmask_b32_e32 v7, v7, v9, vcc
	v_cndmask_b32_e32 v4, v4, v8, vcc
	v_add_u32_e32 v8, 1, v4
	v_cmp_le_u32_e32 vcc, s18, v7
	v_cndmask_b32_e32 v7, v4, v8, vcc
	v_mov_b32_e32 v8, v3
.LBB0_6:                                ;   in Loop: Header=BB0_2 Depth=1
	s_or_b64 exec, exec, s[0:1]
	v_mul_lo_u32 v4, v8, s18
	v_mul_lo_u32 v11, v7, s19
	v_mad_u64_u32 v[9:10], s[0:1], v7, s18, 0
	s_load_dwordx2 s[0:1], s[6:7], 0x0
	s_add_u32 s16, s16, 1
	v_add3_u32 v4, v10, v11, v4
	v_sub_co_u32_e32 v5, vcc, v5, v9
	v_subb_co_u32_e32 v4, vcc, v6, v4, vcc
	s_waitcnt lgkmcnt(0)
	v_mul_lo_u32 v4, s0, v4
	v_mul_lo_u32 v6, s1, v5
	v_mad_u64_u32 v[1:2], s[0:1], s0, v5, v[1:2]
	s_addc_u32 s17, s17, 0
	s_add_u32 s6, s6, 8
	v_add3_u32 v2, v6, v2, v4
	v_mov_b32_e32 v4, s10
	v_mov_b32_e32 v5, s11
	s_addc_u32 s7, s7, 0
	v_cmp_ge_u64_e32 vcc, s[16:17], v[4:5]
	s_add_u32 s14, s14, 8
	s_addc_u32 s15, s15, 0
	s_cbranch_vccnz .LBB0_9
; %bb.7:                                ;   in Loop: Header=BB0_2 Depth=1
	v_mov_b32_e32 v5, v7
	v_mov_b32_e32 v6, v8
	s_branch .LBB0_2
.LBB0_8:
	v_mov_b32_e32 v8, v6
	v_mov_b32_e32 v7, v5
.LBB0_9:
	s_lshl_b64 s[0:1], s[10:11], 3
	s_add_u32 s0, s12, s0
	s_addc_u32 s1, s13, s1
	s_load_dwordx2 s[6:7], s[0:1], 0x0
	s_load_dwordx2 s[10:11], s[4:5], 0x20
	s_waitcnt lgkmcnt(0)
	v_mad_u64_u32 v[1:2], s[0:1], s6, v7, v[1:2]
	s_mov_b32 s0, 0x1f81f82
	v_mul_lo_u32 v3, s6, v8
	v_mul_lo_u32 v4, s7, v7
	v_mul_hi_u32 v5, v0, s0
	v_cmp_gt_u64_e64 s[0:1], s[10:11], v[7:8]
	v_add3_u32 v2, v4, v2, v3
	v_mul_u32_u24_e32 v3, 0x82, v5
	v_sub_u32_e32 v24, v0, v3
	v_lshlrev_b64 v[26:27], 3, v[1:2]
	v_lshl_add_u32 v30, v24, 3, 0
	s_and_saveexec_b64 s[4:5], s[0:1]
	s_cbranch_execz .LBB0_11
; %bb.10:
	v_mov_b32_e32 v25, 0
	v_mov_b32_e32 v0, s3
	v_add_co_u32_e32 v2, vcc, s2, v26
	v_addc_co_u32_e32 v3, vcc, v0, v27, vcc
	v_lshlrev_b64 v[0:1], 3, v[24:25]
	s_movk_i32 s6, 0x1000
	v_add_co_u32_e32 v0, vcc, v2, v0
	v_addc_co_u32_e32 v1, vcc, v3, v1, vcc
	v_add_co_u32_e32 v10, vcc, s6, v0
	v_addc_co_u32_e32 v11, vcc, 0, v1, vcc
	global_load_dwordx2 v[2:3], v[0:1], off
	global_load_dwordx2 v[4:5], v[0:1], off offset:1040
	global_load_dwordx2 v[6:7], v[0:1], off offset:2080
	;; [unrolled: 1-line block ×3, first 2 shown]
	v_add_co_u32_e32 v0, vcc, 0x2000, v0
	v_addc_co_u32_e32 v1, vcc, 0, v1, vcc
	global_load_dwordx2 v[12:13], v[10:11], off offset:64
	global_load_dwordx2 v[14:15], v[10:11], off offset:1104
	;; [unrolled: 1-line block ×6, first 2 shown]
	v_add_u32_e32 v0, 0x800, v30
	v_add_u32_e32 v1, 0x1000, v30
	v_add_u32_e32 v10, 0x1800, v30
	s_waitcnt vmcnt(8)
	ds_write2_b64 v30, v[2:3], v[4:5] offset1:130
	s_waitcnt vmcnt(6)
	ds_write2_b64 v0, v[6:7], v[8:9] offset0:4 offset1:134
	s_waitcnt vmcnt(4)
	ds_write2_b64 v1, v[12:13], v[14:15] offset0:8 offset1:138
	;; [unrolled: 2-line block ×3, first 2 shown]
	v_add_u32_e32 v0, 0x2000, v30
	s_waitcnt vmcnt(0)
	ds_write2_b64 v0, v[20:21], v[22:23] offset0:16 offset1:146
.LBB0_11:
	s_or_b64 exec, exec, s[4:5]
	v_add_u32_e32 v21, 0x800, v30
	s_waitcnt lgkmcnt(0)
	s_barrier
	ds_read2_b64 v[0:3], v30 offset1:130
	ds_read2_b64 v[4:7], v21 offset0:4 offset1:134
	v_add_u32_e32 v20, 0x1000, v30
	ds_read2_b64 v[8:11], v20 offset0:8 offset1:138
	v_add_u32_e32 v22, 0x1800, v30
	v_add_u32_e32 v41, 0x2000, v30
	s_waitcnt lgkmcnt(1)
	v_add_f32_e32 v12, v0, v4
	v_add_f32_e32 v16, v2, v6
	s_waitcnt lgkmcnt(0)
	v_add_f32_e32 v23, v12, v8
	v_add_f32_e32 v12, v1, v5
	;; [unrolled: 1-line block ×5, first 2 shown]
	ds_read2_b64 v[12:15], v22 offset0:12 offset1:142
	v_add_f32_e32 v29, v16, v11
	ds_read2_b64 v[16:19], v41 offset0:16 offset1:146
	v_sub_f32_e32 v33, v4, v8
	v_sub_f32_e32 v34, v8, v4
	s_waitcnt lgkmcnt(1)
	v_add_f32_e32 v37, v10, v14
	v_sub_f32_e32 v32, v9, v13
	s_waitcnt lgkmcnt(0)
	v_add_f32_e32 v45, v4, v16
	v_sub_f32_e32 v46, v4, v16
	v_add_f32_e32 v4, v23, v12
	v_sub_f32_e32 v23, v16, v12
	;; [unrolled: 2-line block ×3, first 2 shown]
	v_sub_f32_e32 v9, v9, v5
	v_add_f32_e32 v42, v11, v15
	v_sub_f32_e32 v44, v5, v17
	v_add_f32_e32 v47, v5, v17
	v_add_f32_e32 v5, v25, v13
	v_sub_f32_e32 v25, v17, v13
	v_add_f32_e32 v23, v33, v23
	v_fma_f32 v33, -0.5, v37, v2
	v_add_f32_e32 v31, v8, v12
	v_sub_f32_e32 v8, v8, v12
	v_sub_f32_e32 v48, v7, v19
	;; [unrolled: 1-line block ×3, first 2 shown]
	v_add_f32_e32 v16, v4, v16
	v_add_f32_e32 v25, v36, v25
	v_mov_b32_e32 v4, v33
	v_fma_f32 v36, -0.5, v42, v3
	v_sub_f32_e32 v38, v11, v15
	v_sub_f32_e32 v39, v6, v10
	;; [unrolled: 1-line block ×5, first 2 shown]
	v_add_f32_e32 v49, v6, v18
	v_sub_f32_e32 v50, v6, v18
	v_add_f32_e32 v51, v7, v19
	v_add_f32_e32 v6, v28, v14
	v_add_f32_e32 v7, v29, v15
	v_sub_f32_e32 v13, v13, v17
	v_sub_f32_e32 v28, v18, v14
	;; [unrolled: 1-line block ×3, first 2 shown]
	v_add_f32_e32 v17, v5, v17
	v_fmac_f32_e32 v4, 0x3f737871, v48
	v_mov_b32_e32 v5, v36
	v_fma_f32 v31, -0.5, v31, v0
	v_fma_f32 v35, -0.5, v35, v1
	v_sub_f32_e32 v10, v10, v14
	v_add_f32_e32 v28, v39, v28
	v_add_f32_e32 v29, v43, v29
	v_fmac_f32_e32 v4, 0x3f167918, v38
	v_fmac_f32_e32 v5, 0xbf737871, v50
	v_mov_b32_e32 v42, v31
	v_mov_b32_e32 v43, v35
	v_fmac_f32_e32 v4, 0x3e9e377a, v28
	v_fmac_f32_e32 v5, 0xbf167918, v10
	;; [unrolled: 1-line block ×5, first 2 shown]
	v_mul_f32_e32 v37, 0x3f4f1bbd, v4
	v_mul_f32_e32 v39, 0xbf167918, v4
	v_fmac_f32_e32 v42, 0x3f167918, v32
	v_fmac_f32_e32 v43, 0xbf167918, v8
	v_sub_f32_e32 v14, v14, v18
	v_sub_f32_e32 v15, v15, v19
	v_add_f32_e32 v18, v6, v18
	v_add_f32_e32 v19, v7, v19
	v_fmac_f32_e32 v37, 0x3f167918, v5
	v_fmac_f32_e32 v39, 0x3f4f1bbd, v5
	;; [unrolled: 1-line block ×4, first 2 shown]
	s_movk_i32 s4, 0x48
	v_add_f32_e32 v4, v16, v18
	v_add_f32_e32 v5, v17, v19
	;; [unrolled: 1-line block ×4, first 2 shown]
	v_mad_u32_u24 v52, v24, s4, v30
	s_barrier
	ds_write2_b64 v52, v[4:5], v[6:7] offset1:1
	v_fma_f32 v6, -0.5, v45, v0
	v_add_f32_e32 v4, v40, v14
	v_fmac_f32_e32 v3, -0.5, v51
	v_fma_f32 v0, -0.5, v49, v2
	v_mov_b32_e32 v14, v6
	v_fma_f32 v7, -0.5, v47, v1
	v_mov_b32_e32 v1, v0
	v_fmac_f32_e32 v0, 0x3f737871, v38
	v_mov_b32_e32 v2, v3
	v_fmac_f32_e32 v14, 0xbf737871, v32
	v_fmac_f32_e32 v6, 0x3f737871, v32
	v_fmac_f32_e32 v0, 0xbf167918, v48
	v_fmac_f32_e32 v3, 0xbf737871, v10
	v_add_f32_e32 v12, v34, v12
	v_fmac_f32_e32 v14, 0x3f167918, v44
	v_fmac_f32_e32 v6, 0xbf167918, v44
	;; [unrolled: 1-line block ×5, first 2 shown]
	v_add_f32_e32 v5, v11, v15
	v_fmac_f32_e32 v0, 0x3e9e377a, v4
	v_fmac_f32_e32 v3, 0x3f167918, v50
	;; [unrolled: 1-line block ×4, first 2 shown]
	v_mov_b32_e32 v12, v7
	v_fmac_f32_e32 v1, 0x3f167918, v48
	v_fmac_f32_e32 v2, 0xbf167918, v50
	;; [unrolled: 1-line block ×4, first 2 shown]
	s_mov_b32 s6, 0x3f737871
	v_fmac_f32_e32 v3, 0x3e9e377a, v5
	v_mul_f32_e32 v11, 0x3e9e377a, v0
	v_fmac_f32_e32 v12, 0x3f737871, v8
	v_fmac_f32_e32 v7, 0xbf737871, v8
	;; [unrolled: 1-line block ×7, first 2 shown]
	v_fma_f32 v11, v3, s6, -v11
	v_mul_f32_e32 v3, 0x3e9e377a, v3
	v_add_f32_e32 v9, v9, v13
	v_fmac_f32_e32 v12, 0xbf167918, v46
	v_fmac_f32_e32 v7, 0x3f167918, v46
	v_mul_f32_e32 v4, 0x3f737871, v2
	v_mul_f32_e32 v5, 0xbf737871, v1
	s_mov_b32 s4, 0xbf737871
	v_fmac_f32_e32 v31, 0xbf737871, v44
	v_fmac_f32_e32 v35, 0x3f167918, v8
	;; [unrolled: 1-line block ×3, first 2 shown]
	s_mov_b32 s7, 0x3f167918
	v_mul_f32_e32 v8, 0x3f4f1bbd, v33
	v_fmac_f32_e32 v12, 0x3e9e377a, v9
	v_fmac_f32_e32 v7, 0x3e9e377a, v9
	;; [unrolled: 1-line block ×4, first 2 shown]
	v_fma_f32 v9, v0, s4, -v3
	v_fmac_f32_e32 v31, 0xbf167918, v32
	s_mov_b32 s5, 0xbf167918
	v_fma_f32 v10, v36, s7, -v8
	v_mul_f32_e32 v8, 0x3f4f1bbd, v36
	v_add_f32_e32 v0, v14, v4
	v_add_f32_e32 v1, v12, v5
	;; [unrolled: 1-line block ×4, first 2 shown]
	v_sub_f32_e32 v6, v6, v11
	v_fmac_f32_e32 v31, 0x3e9e377a, v23
	v_fmac_f32_e32 v35, 0x3e9e377a, v25
	v_fma_f32 v11, v33, s5, -v8
	ds_write2_b64 v52, v[0:1], v[2:3] offset0:2 offset1:3
	v_sub_f32_e32 v0, v16, v18
	v_sub_f32_e32 v1, v17, v19
	;; [unrolled: 1-line block ×3, first 2 shown]
	v_add_f32_e32 v8, v31, v10
	v_add_f32_e32 v9, v35, v11
	s_movk_i32 s10, 0xcd
	v_sub_f32_e32 v2, v42, v37
	v_sub_f32_e32 v3, v43, v39
	;; [unrolled: 1-line block ×6, first 2 shown]
	ds_write2_b64 v52, v[8:9], v[0:1] offset0:4 offset1:5
	ds_write2_b64 v52, v[2:3], v[4:5] offset0:6 offset1:7
	;; [unrolled: 1-line block ×3, first 2 shown]
	v_mul_lo_u16_sdwa v0, v24, s10 dst_sel:DWORD dst_unused:UNUSED_PAD src0_sel:BYTE_0 src1_sel:DWORD
	v_lshrrev_b16_e32 v23, 11, v0
	v_mul_lo_u16_e32 v0, 10, v23
	v_sub_u16_e32 v25, v24, v0
	v_mov_b32_e32 v0, 9
	v_mul_u32_u24_sdwa v0, v25, v0 dst_sel:DWORD dst_unused:UNUSED_PAD src0_sel:BYTE_0 src1_sel:DWORD
	v_lshlrev_b32_e32 v16, 3, v0
	s_waitcnt lgkmcnt(0)
	s_barrier
	global_load_dwordx2 v[28:29], v16, s[8:9] offset:64
	global_load_dwordx4 v[0:3], v16, s[8:9] offset:48
	global_load_dwordx4 v[4:7], v16, s[8:9] offset:32
	;; [unrolled: 1-line block ×3, first 2 shown]
	global_load_dwordx4 v[12:15], v16, s[8:9]
	ds_read2_b64 v[16:19], v41 offset0:16 offset1:146
	v_mul_u32_u24_e32 v23, 0x320, v23
	s_waitcnt vmcnt(4) lgkmcnt(0)
	v_mul_f32_e32 v31, v19, v29
	v_fma_f32 v35, v18, v28, -v31
	ds_read2_b64 v[31:34], v22 offset0:12 offset1:142
	v_mul_f32_e32 v29, v18, v29
	v_fmac_f32_e32 v29, v19, v28
	s_waitcnt vmcnt(3)
	v_mul_f32_e32 v18, v17, v3
	v_mul_f32_e32 v28, v16, v3
	v_fma_f32 v19, v16, v2, -v18
	v_fmac_f32_e32 v28, v17, v2
	s_waitcnt lgkmcnt(0)
	v_mul_f32_e32 v2, v34, v1
	v_mul_f32_e32 v17, v33, v1
	v_fma_f32 v16, v33, v0, -v2
	v_fmac_f32_e32 v17, v34, v0
	ds_read2_b64 v[0:3], v20 offset0:8 offset1:138
	s_waitcnt vmcnt(2)
	v_mul_f32_e32 v18, v32, v7
	v_fma_f32 v33, v31, v6, -v18
	v_mul_f32_e32 v31, v31, v7
	v_fmac_f32_e32 v31, v32, v6
	s_waitcnt lgkmcnt(0)
	v_mul_f32_e32 v6, v5, v3
	v_mul_f32_e32 v32, v5, v2
	v_fma_f32 v18, v4, v2, -v6
	v_fmac_f32_e32 v32, v4, v3
	ds_read2_b64 v[2:5], v21 offset0:4 offset1:134
	s_waitcnt vmcnt(1)
	v_mul_f32_e32 v6, v11, v1
	v_mul_f32_e32 v11, v11, v0
	v_fma_f32 v34, v10, v0, -v6
	v_fmac_f32_e32 v11, v10, v1
	s_waitcnt lgkmcnt(0)
	v_mul_f32_e32 v0, v9, v5
	v_mul_f32_e32 v1, v9, v4
	v_fma_f32 v0, v8, v4, -v0
	v_fmac_f32_e32 v1, v8, v5
	ds_read2_b64 v[4:7], v30 offset1:130
	s_waitcnt vmcnt(0)
	v_mul_f32_e32 v8, v15, v3
	v_fma_f32 v9, v14, v2, -v8
	v_mul_f32_e32 v36, v15, v2
	v_fmac_f32_e32 v36, v14, v3
	s_waitcnt lgkmcnt(0)
	v_mul_f32_e32 v2, v13, v7
	v_fma_f32 v37, v12, v6, -v2
	v_add_f32_e32 v2, v34, v33
	v_mul_f32_e32 v13, v13, v6
	v_fma_f32 v3, -0.5, v2, v4
	v_add_f32_e32 v2, v9, v19
	v_fmac_f32_e32 v13, v12, v7
	v_fma_f32 v7, -0.5, v2, v4
	v_add_f32_e32 v2, v11, v31
	v_fma_f32 v38, -0.5, v2, v5
	v_add_f32_e32 v2, v36, v28
	;; [unrolled: 2-line block ×3, first 2 shown]
	v_sub_f32_e32 v4, v9, v34
	v_sub_f32_e32 v6, v19, v33
	v_add_f32_e32 v4, v4, v6
	v_sub_f32_e32 v6, v36, v28
	v_mov_b32_e32 v8, v3
	v_fmac_f32_e32 v8, 0x3f737871, v6
	v_sub_f32_e32 v10, v11, v31
	v_fmac_f32_e32 v3, 0xbf737871, v6
	v_fmac_f32_e32 v8, 0x3f167918, v10
	;; [unrolled: 1-line block ×5, first 2 shown]
	v_sub_f32_e32 v4, v34, v9
	v_sub_f32_e32 v12, v33, v19
	v_add_f32_e32 v4, v4, v12
	v_mov_b32_e32 v12, v7
	v_fmac_f32_e32 v12, 0xbf737871, v10
	v_fmac_f32_e32 v7, 0x3f737871, v10
	;; [unrolled: 1-line block ×6, first 2 shown]
	v_sub_f32_e32 v4, v0, v18
	v_sub_f32_e32 v6, v35, v16
	v_add_f32_e32 v4, v4, v6
	v_add_f32_e32 v6, v18, v16
	v_fma_f32 v40, -0.5, v6, v37
	v_sub_f32_e32 v6, v1, v29
	v_mov_b32_e32 v41, v40
	v_fmac_f32_e32 v41, 0x3f737871, v6
	v_sub_f32_e32 v10, v32, v17
	v_fmac_f32_e32 v40, 0xbf737871, v6
	v_fmac_f32_e32 v41, 0x3f167918, v10
	;; [unrolled: 1-line block ×3, first 2 shown]
	v_add_f32_e32 v14, v0, v35
	v_fmac_f32_e32 v41, 0x3e9e377a, v4
	v_fmac_f32_e32 v40, 0x3e9e377a, v4
	v_add_f32_e32 v4, v37, v0
	v_fmac_f32_e32 v37, -0.5, v14
	v_mov_b32_e32 v42, v37
	v_fmac_f32_e32 v42, 0xbf737871, v10
	v_fmac_f32_e32 v37, 0x3f737871, v10
	v_sub_f32_e32 v14, v18, v0
	v_sub_f32_e32 v15, v16, v35
	v_fmac_f32_e32 v42, 0x3f167918, v6
	v_fmac_f32_e32 v37, 0xbf167918, v6
	v_add_f32_e32 v4, v4, v18
	v_sub_f32_e32 v6, v1, v32
	v_sub_f32_e32 v10, v29, v17
	v_add_f32_e32 v14, v14, v15
	v_add_f32_e32 v4, v4, v16
	;; [unrolled: 1-line block ×4, first 2 shown]
	v_fmac_f32_e32 v42, 0x3e9e377a, v14
	v_fmac_f32_e32 v37, 0x3e9e377a, v14
	v_add_f32_e32 v14, v4, v35
	v_sub_f32_e32 v0, v0, v35
	v_fma_f32 v35, -0.5, v10, v13
	v_mov_b32_e32 v43, v35
	v_sub_f32_e32 v4, v18, v16
	v_fmac_f32_e32 v43, 0xbf737871, v0
	v_fmac_f32_e32 v35, 0x3f737871, v0
	;; [unrolled: 1-line block ×6, first 2 shown]
	v_add_f32_e32 v6, v1, v29
	v_add_f32_e32 v15, v13, v1
	v_fmac_f32_e32 v13, -0.5, v6
	v_mov_b32_e32 v44, v13
	v_sub_f32_e32 v1, v32, v1
	v_sub_f32_e32 v6, v17, v29
	v_fmac_f32_e32 v44, 0x3f737871, v4
	v_add_f32_e32 v1, v1, v6
	v_fmac_f32_e32 v13, 0xbf737871, v4
	v_fmac_f32_e32 v44, 0xbf167918, v0
	;; [unrolled: 1-line block ×4, first 2 shown]
	v_add_f32_e32 v0, v2, v34
	v_add_f32_e32 v0, v0, v33
	v_mul_f32_e32 v4, 0x3f167918, v43
	v_mul_f32_e32 v10, 0x3f737871, v44
	v_fmac_f32_e32 v13, 0x3e9e377a, v1
	v_add_f32_e32 v1, v0, v19
	v_fmac_f32_e32 v4, 0x3f4f1bbd, v41
	v_fmac_f32_e32 v10, 0x3e9e377a, v42
	v_mul_f32_e32 v6, 0x3e9e377a, v37
	v_add_f32_e32 v0, v1, v14
	v_add_f32_e32 v2, v8, v4
	v_fma_f32 v16, v13, s6, -v6
	v_sub_f32_e32 v4, v8, v4
	v_sub_f32_e32 v6, v12, v10
	v_add_f32_e32 v8, v12, v10
	v_mul_f32_e32 v12, 0x3f4f1bbd, v40
	v_sub_f32_e32 v14, v1, v14
	v_add_f32_e32 v1, v15, v32
	v_add_f32_e32 v5, v5, v36
	v_fma_f32 v18, v35, s7, -v12
	v_add_f32_e32 v1, v1, v17
	v_add_f32_e32 v12, v3, v18
	v_sub_f32_e32 v18, v3, v18
	v_add_f32_e32 v3, v1, v29
	v_add_f32_e32 v1, v5, v11
	;; [unrolled: 1-line block ×4, first 2 shown]
	v_sub_f32_e32 v16, v7, v16
	v_add_f32_e32 v5, v1, v28
	v_sub_f32_e32 v19, v9, v19
	v_mov_b32_e32 v7, v38
	v_add_f32_e32 v1, v5, v3
	v_sub_f32_e32 v15, v5, v3
	v_sub_f32_e32 v29, v34, v33
	;; [unrolled: 1-line block ×4, first 2 shown]
	v_fmac_f32_e32 v7, 0xbf737871, v19
	v_add_f32_e32 v32, v3, v5
	v_mul_f32_e32 v5, 0xbf167918, v41
	v_fmac_f32_e32 v7, 0xbf167918, v29
	v_fmac_f32_e32 v5, 0x3f4f1bbd, v43
	;; [unrolled: 1-line block ×3, first 2 shown]
	v_mov_b32_e32 v17, v39
	v_add_f32_e32 v3, v7, v5
	v_sub_f32_e32 v5, v7, v5
	v_sub_f32_e32 v7, v11, v36
	;; [unrolled: 1-line block ×3, first 2 shown]
	v_fmac_f32_e32 v17, 0x3f737871, v29
	v_fmac_f32_e32 v39, 0xbf737871, v29
	v_add_f32_e32 v11, v7, v9
	v_fmac_f32_e32 v17, 0xbf167918, v19
	v_fmac_f32_e32 v39, 0x3f167918, v19
	v_mul_f32_e32 v7, 0xbf737871, v42
	v_fmac_f32_e32 v17, 0x3e9e377a, v11
	v_fmac_f32_e32 v39, 0x3e9e377a, v11
	v_mul_f32_e32 v11, 0x3e9e377a, v13
	v_fmac_f32_e32 v7, 0x3e9e377a, v44
	v_fma_f32 v13, v37, s4, -v11
	v_fmac_f32_e32 v38, 0x3f737871, v19
	v_add_f32_e32 v9, v17, v7
	v_sub_f32_e32 v7, v17, v7
	v_add_f32_e32 v11, v39, v13
	v_sub_f32_e32 v17, v39, v13
	v_fmac_f32_e32 v38, 0x3f167918, v29
	v_mul_f32_e32 v13, 0x3f4f1bbd, v35
	v_mov_b32_e32 v28, 3
	v_fmac_f32_e32 v38, 0x3e9e377a, v32
	v_fma_f32 v19, v40, s5, -v13
	v_lshlrev_b32_sdwa v25, v28, v25 dst_sel:DWORD dst_unused:UNUSED_PAD src0_sel:DWORD src1_sel:BYTE_0
	s_movk_i32 s4, 0x64
	v_add_f32_e32 v13, v38, v19
	v_sub_f32_e32 v19, v38, v19
	v_add3_u32 v23, 0, v23, v25
	v_cmp_gt_u32_e32 vcc, s4, v24
	s_barrier
	ds_write2_b64 v23, v[0:1], v[2:3] offset1:10
	ds_write2_b64 v23, v[8:9], v[10:11] offset0:20 offset1:30
	ds_write2_b64 v23, v[12:13], v[14:15] offset0:40 offset1:50
	ds_write2_b64 v23, v[4:5], v[6:7] offset0:60 offset1:70
	ds_write2_b64 v23, v[16:17], v[18:19] offset0:80 offset1:90
	s_waitcnt lgkmcnt(0)
	s_barrier
	s_waitcnt lgkmcnt(0)
                                        ; implicit-def: $vgpr29
                                        ; implicit-def: $vgpr23
	s_and_saveexec_b64 s[4:5], vcc
	s_cbranch_execz .LBB0_13
; %bb.12:
	v_add_u32_e32 v4, 0x400, v30
	ds_read2_b64 v[0:3], v30 offset1:100
	ds_read2_b64 v[8:11], v4 offset0:72 offset1:172
	ds_read2_b64 v[12:15], v21 offset0:144 offset1:244
	;; [unrolled: 1-line block ×4, first 2 shown]
	v_add_u32_e32 v20, 0x1c00, v30
	ds_read2_b64 v[20:23], v20 offset0:104 offset1:204
	ds_read_b64 v[28:29], v30 offset:9600
.LBB0_13:
	s_or_b64 exec, exec, s[4:5]
	s_waitcnt lgkmcnt(0)
	s_barrier
	s_and_saveexec_b64 s[4:5], vcc
	s_cbranch_execz .LBB0_15
; %bb.14:
	v_add_u32_e32 v25, 0xffffff9c, v24
	v_cndmask_b32_e32 v25, v25, v24, vcc
	v_mul_i32_i24_e32 v31, 12, v25
	v_mov_b32_e32 v32, 0
	v_lshlrev_b64 v[31:32], 3, v[31:32]
	v_mov_b32_e32 v25, s9
	v_add_co_u32_e32 v55, vcc, s8, v31
	v_addc_co_u32_e32 v56, vcc, v25, v32, vcc
	global_load_dwordx4 v[31:34], v[55:56], off offset:720
	global_load_dwordx4 v[35:38], v[55:56], off offset:800
	;; [unrolled: 1-line block ×6, first 2 shown]
	s_mov_b32 s6, 0xbf788fa5
	s_mov_b32 s7, 0x3f62ad3f
	;; [unrolled: 1-line block ×6, first 2 shown]
	s_waitcnt vmcnt(5)
	v_mul_f32_e32 v25, v3, v32
	s_waitcnt vmcnt(4)
	v_mul_f32_e32 v55, v29, v38
	v_mul_f32_e32 v57, v23, v36
	;; [unrolled: 1-line block ×5, first 2 shown]
	s_waitcnt vmcnt(3)
	v_mul_f32_e32 v60, v13, v42
	v_fma_f32 v28, v28, v37, -v55
	v_fmac_f32_e32 v36, v23, v35
	v_fma_f32 v23, v2, v31, -v25
	v_mul_f32_e32 v32, v2, v32
	v_mul_f32_e32 v58, v11, v40
	s_waitcnt vmcnt(2)
	v_mul_f32_e32 v59, v21, v46
	v_mul_f32_e32 v46, v20, v46
	;; [unrolled: 1-line block ×3, first 2 shown]
	v_fmac_f32_e32 v38, v29, v37
	v_fma_f32 v22, v22, v35, -v57
	v_fma_f32 v25, v8, v33, -v56
	;; [unrolled: 1-line block ×3, first 2 shown]
	v_sub_f32_e32 v12, v23, v28
	v_mul_f32_e32 v34, v8, v34
	v_mul_f32_e32 v61, v19, v44
	;; [unrolled: 1-line block ×3, first 2 shown]
	s_waitcnt vmcnt(1)
	v_mul_f32_e32 v62, v15, v48
	v_mul_f32_e32 v48, v14, v48
	v_fmac_f32_e32 v32, v3, v31
	v_fma_f32 v20, v20, v45, -v59
	v_fmac_f32_e32 v46, v21, v45
	v_fma_f32 v21, v10, v39, -v58
	v_fmac_f32_e32 v42, v13, v41
	v_sub_f32_e32 v13, v25, v22
	v_mul_f32_e32 v45, 0xbe750f2a, v12
	v_mul_f32_e32 v40, v10, v40
	;; [unrolled: 1-line block ×4, first 2 shown]
	v_fmac_f32_e32 v34, v9, v33
	v_fmac_f32_e32 v44, v19, v43
	v_fma_f32 v14, v14, v47, -v62
	v_fmac_f32_e32 v48, v15, v47
	v_add_f32_e32 v31, v32, v38
	v_sub_f32_e32 v19, v21, v20
	v_mul_f32_e32 v47, 0x3eedf032, v13
	v_mov_b32_e32 v2, v45
	v_fmac_f32_e32 v40, v11, v39
	v_fma_f32 v15, v4, v49, -v64
	v_fmac_f32_e32 v50, v5, v49
	v_add_f32_e32 v33, v34, v36
	v_mul_f32_e32 v49, 0xbf29c268, v19
	v_mov_b32_e32 v3, v47
	v_fmac_f32_e32 v2, 0xbf788fa5, v31
	v_sub_f32_e32 v56, v32, v38
	v_add_f32_e32 v35, v40, v46
	v_mov_b32_e32 v4, v49
	v_fmac_f32_e32 v3, 0x3f62ad3f, v33
	v_add_f32_e32 v2, v1, v2
	v_add_f32_e32 v55, v23, v28
	v_mul_f32_e32 v57, 0xbe750f2a, v56
	v_sub_f32_e32 v59, v34, v36
	s_waitcnt vmcnt(0)
	v_mul_f32_e32 v63, v17, v54
	v_mul_f32_e32 v54, v16, v54
	;; [unrolled: 1-line block ×3, first 2 shown]
	v_fma_f32 v18, v18, v43, -v61
	v_fmac_f32_e32 v4, 0xbf3f9e67, v35
	v_add_f32_e32 v2, v3, v2
	v_fma_f32 v3, v55, s6, -v57
	v_add_f32_e32 v58, v25, v22
	v_mul_f32_e32 v60, 0x3eedf032, v59
	v_sub_f32_e32 v62, v40, v46
	v_mul_f32_e32 v52, v6, v52
	v_fma_f32 v16, v16, v53, -v63
	v_fmac_f32_e32 v54, v17, v53
	v_fma_f32 v17, v6, v51, -v65
	v_sub_f32_e32 v37, v29, v18
	v_add_f32_e32 v2, v4, v2
	v_add_f32_e32 v3, v0, v3
	v_fma_f32 v4, v58, s7, -v60
	v_add_f32_e32 v61, v21, v20
	v_mul_f32_e32 v63, 0xbf29c268, v62
	v_sub_f32_e32 v65, v42, v44
	v_fmac_f32_e32 v52, v7, v51
	v_sub_f32_e32 v41, v14, v16
	v_mul_f32_e32 v51, 0x3f52af12, v37
	v_add_f32_e32 v3, v4, v3
	v_fma_f32 v4, v61, s10, -v63
	v_add_f32_e32 v64, v29, v18
	v_mul_f32_e32 v66, 0x3f52af12, v65
	v_sub_f32_e32 v68, v48, v54
	v_add_f32_e32 v39, v42, v44
	v_mul_f32_e32 v53, 0xbf6f5d39, v41
	v_mov_b32_e32 v5, v51
	v_add_f32_e32 v3, v4, v3
	v_fma_f32 v4, v64, s11, -v66
	v_add_f32_e32 v67, v14, v16
	v_mul_f32_e32 v69, 0xbf6f5d39, v68
	v_sub_f32_e32 v70, v15, v17
	v_add_f32_e32 v43, v48, v54
	v_mov_b32_e32 v6, v53
	v_fmac_f32_e32 v5, 0x3f116cb1, v39
	v_add_f32_e32 v3, v4, v3
	v_fma_f32 v4, v67, s12, -v69
	v_mul_f32_e32 v71, 0x3f7e222b, v70
	v_fmac_f32_e32 v6, 0xbeb58ec6, v43
	v_add_f32_e32 v2, v5, v2
	v_add_f32_e32 v4, v4, v3
	;; [unrolled: 1-line block ×3, first 2 shown]
	v_mov_b32_e32 v3, v71
	v_sub_f32_e32 v74, v50, v52
	v_add_f32_e32 v2, v6, v2
	v_fmac_f32_e32 v3, 0x3df6dbef, v72
	v_add_f32_e32 v73, v15, v17
	v_mul_f32_e32 v75, 0x3f7e222b, v74
	v_add_f32_e32 v3, v3, v2
	v_fma_f32 v2, v73, s13, -v75
	v_mul_f32_e32 v76, 0xbf29c268, v12
	v_add_f32_e32 v2, v2, v4
	v_mov_b32_e32 v4, v76
	v_mul_f32_e32 v77, 0x3f7e222b, v13
	v_fmac_f32_e32 v4, 0xbf3f9e67, v31
	v_mov_b32_e32 v5, v77
	v_add_f32_e32 v4, v1, v4
	v_fmac_f32_e32 v5, 0x3df6dbef, v33
	v_mul_f32_e32 v78, 0xbf52af12, v19
	v_add_f32_e32 v4, v5, v4
	v_mov_b32_e32 v5, v78
	v_fmac_f32_e32 v5, 0x3f116cb1, v35
	v_mul_f32_e32 v79, 0x3e750f2a, v37
	v_add_f32_e32 v4, v5, v4
	v_mov_b32_e32 v5, v79
	v_fmac_f32_e32 v5, 0xbf788fa5, v39
	v_mul_f32_e32 v80, 0x3eedf032, v41
	v_add_f32_e32 v4, v5, v4
	v_mov_b32_e32 v5, v80
	v_fmac_f32_e32 v5, 0x3f62ad3f, v43
	v_mul_f32_e32 v81, 0xbf29c268, v56
	v_add_f32_e32 v4, v5, v4
	v_fma_f32 v5, v55, s10, -v81
	v_mul_f32_e32 v82, 0x3f7e222b, v59
	v_add_f32_e32 v5, v0, v5
	v_fma_f32 v6, v58, s13, -v82
	v_mul_f32_e32 v83, 0xbf52af12, v62
	v_add_f32_e32 v5, v6, v5
	v_fma_f32 v6, v61, s11, -v83
	v_mul_f32_e32 v84, 0x3e750f2a, v65
	v_add_f32_e32 v5, v6, v5
	v_fma_f32 v6, v64, s6, -v84
	v_mul_f32_e32 v85, 0x3eedf032, v68
	v_add_f32_e32 v5, v6, v5
	v_fma_f32 v6, v67, s7, -v85
	v_mul_f32_e32 v86, 0xbf6f5d39, v70
	v_add_f32_e32 v6, v6, v5
	v_mov_b32_e32 v5, v86
	v_fmac_f32_e32 v5, 0xbeb58ec6, v72
	v_mul_f32_e32 v87, 0xbf6f5d39, v74
	v_add_f32_e32 v5, v5, v4
	v_fma_f32 v4, v73, s12, -v87
	v_mul_f32_e32 v88, 0xbf6f5d39, v12
	v_add_f32_e32 v4, v4, v6
	v_mov_b32_e32 v6, v88
	v_mul_f32_e32 v89, 0x3f29c268, v13
	v_fmac_f32_e32 v6, 0xbeb58ec6, v31
	v_mov_b32_e32 v7, v89
	v_add_f32_e32 v6, v1, v6
	v_fmac_f32_e32 v7, 0xbf3f9e67, v33
	v_mul_f32_e32 v90, 0x3eedf032, v19
	v_add_f32_e32 v6, v7, v6
	v_mov_b32_e32 v7, v90
	v_fmac_f32_e32 v7, 0x3f62ad3f, v35
	v_mul_f32_e32 v91, 0xbf7e222b, v37
	v_add_f32_e32 v6, v7, v6
	v_mov_b32_e32 v7, v91
	v_fmac_f32_e32 v7, 0x3df6dbef, v39
	v_mul_f32_e32 v92, 0x3e750f2a, v41
	v_add_f32_e32 v6, v7, v6
	v_mov_b32_e32 v7, v92
	v_fmac_f32_e32 v7, 0xbf788fa5, v43
	v_mul_f32_e32 v93, 0xbf6f5d39, v56
	v_add_f32_e32 v6, v7, v6
	v_fma_f32 v7, v55, s12, -v93
	v_mul_f32_e32 v94, 0x3f29c268, v59
	v_add_f32_e32 v7, v0, v7
	v_fma_f32 v8, v58, s10, -v94
	v_mul_f32_e32 v95, 0x3eedf032, v62
	v_add_f32_e32 v7, v8, v7
	v_fma_f32 v8, v61, s7, -v95
	v_mul_f32_e32 v96, 0xbf7e222b, v65
	v_add_f32_e32 v7, v8, v7
	v_fma_f32 v8, v64, s13, -v96
	v_mul_f32_e32 v97, 0x3e750f2a, v68
	v_add_f32_e32 v7, v8, v7
	v_fma_f32 v8, v67, s6, -v97
	v_mul_f32_e32 v98, 0x3f52af12, v70
	v_add_f32_e32 v8, v8, v7
	v_mov_b32_e32 v7, v98
	v_fmac_f32_e32 v7, 0x3f116cb1, v72
	;; [unrolled: 42-line block ×3, first 2 shown]
	v_mul_f32_e32 v111, 0xbf29c268, v74
	v_add_f32_e32 v9, v9, v8
	v_fma_f32 v8, v73, s10, -v111
	v_mul_f32_e32 v112, 0xbf52af12, v12
	v_add_f32_e32 v8, v8, v10
	v_mov_b32_e32 v10, v112
	v_mul_f32_e32 v113, 0xbf6f5d39, v13
	v_fmac_f32_e32 v10, 0x3f116cb1, v31
	v_mov_b32_e32 v11, v113
	v_add_f32_e32 v10, v1, v10
	v_fmac_f32_e32 v11, 0xbeb58ec6, v33
	v_mul_f32_e32 v114, 0xbe750f2a, v19
	v_add_f32_e32 v10, v11, v10
	v_mov_b32_e32 v11, v114
	v_fmac_f32_e32 v11, 0xbf788fa5, v35
	v_mul_f32_e32 v115, 0x3f29c268, v37
	v_add_f32_e32 v10, v11, v10
	v_mov_b32_e32 v11, v115
	;; [unrolled: 4-line block ×3, first 2 shown]
	v_fmac_f32_e32 v11, 0x3df6dbef, v43
	v_mul_f32_e32 v117, 0xbf52af12, v56
	v_add_f32_e32 v10, v11, v10
	v_fma_f32 v11, v55, s11, -v117
	v_mul_f32_e32 v118, 0xbf6f5d39, v59
	v_add_f32_e32 v11, v0, v11
	v_fma_f32 v119, v58, s12, -v118
	v_add_f32_e32 v11, v119, v11
	v_mul_f32_e32 v119, 0xbe750f2a, v62
	v_fma_f32 v120, v61, s6, -v119
	v_add_f32_e32 v11, v120, v11
	v_mul_f32_e32 v120, 0x3f29c268, v65
	;; [unrolled: 3-line block ×3, first 2 shown]
	v_fma_f32 v122, v67, s13, -v121
	v_mul_f32_e32 v123, 0x3eedf032, v70
	v_add_f32_e32 v122, v122, v11
	v_mov_b32_e32 v11, v123
	v_fmac_f32_e32 v11, 0x3f62ad3f, v72
	v_mul_f32_e32 v124, 0x3eedf032, v74
	v_add_f32_e32 v11, v11, v10
	v_fma_f32 v10, v73, s7, -v124
	v_add_f32_e32 v10, v10, v122
	v_mul_f32_e32 v122, 0xbeedf032, v12
	v_mov_b32_e32 v12, v122
	v_mul_f32_e32 v125, 0xbf52af12, v13
	v_fmac_f32_e32 v12, 0x3f62ad3f, v31
	v_mov_b32_e32 v13, v125
	v_add_f32_e32 v12, v1, v12
	v_fmac_f32_e32 v13, 0x3f116cb1, v33
	v_mul_f32_e32 v126, 0xbf7e222b, v19
	v_add_f32_e32 v12, v13, v12
	v_mov_b32_e32 v13, v126
	v_fmac_f32_e32 v13, 0x3df6dbef, v35
	v_mul_f32_e32 v37, 0xbf6f5d39, v37
	v_add_f32_e32 v12, v13, v12
	v_mov_b32_e32 v13, v37
	;; [unrolled: 4-line block ×3, first 2 shown]
	v_fmac_f32_e32 v13, 0xbf3f9e67, v43
	v_mul_f32_e32 v56, 0xbeedf032, v56
	v_add_f32_e32 v12, v13, v12
	v_fma_f32 v13, v55, s7, -v56
	v_mul_f32_e32 v59, 0xbf52af12, v59
	v_add_f32_e32 v13, v0, v13
	v_fma_f32 v19, v58, s11, -v59
	v_mul_f32_e32 v62, 0xbf7e222b, v62
	v_add_f32_e32 v23, v0, v23
	v_add_f32_e32 v13, v19, v13
	v_fma_f32 v19, v61, s13, -v62
	v_mul_f32_e32 v65, 0xbf6f5d39, v65
	v_add_f32_e32 v23, v23, v25
	;; [unrolled: 4-line block ×4, first 2 shown]
	v_add_f32_e32 v19, v19, v13
	v_mov_b32_e32 v13, v70
	v_add_f32_e32 v14, v21, v14
	v_fmac_f32_e32 v13, 0xbf788fa5, v72
	v_mul_f32_e32 v74, 0xbe750f2a, v74
	v_add_f32_e32 v14, v14, v15
	v_add_f32_e32 v13, v13, v12
	v_fma_f32 v12, v73, s6, -v74
	v_add_f32_e32 v14, v14, v17
	v_add_f32_e32 v12, v12, v19
	;; [unrolled: 1-line block ×4, first 2 shown]
	v_fma_f32 v16, v31, s6, -v45
	v_add_f32_e32 v19, v19, v34
	v_add_f32_e32 v16, v1, v16
	v_fma_f32 v17, v33, s7, -v47
	v_add_f32_e32 v19, v19, v40
	v_add_f32_e32 v16, v17, v16
	;; [unrolled: 3-line block ×4, first 2 shown]
	v_fma_f32 v17, v43, s12, -v53
	v_fmac_f32_e32 v57, 0xbf788fa5, v55
	v_add_f32_e32 v19, v19, v50
	v_add_f32_e32 v16, v17, v16
	;; [unrolled: 1-line block ×3, first 2 shown]
	v_fmac_f32_e32 v60, 0x3f62ad3f, v58
	v_add_f32_e32 v19, v19, v52
	v_add_f32_e32 v17, v60, v17
	v_fmac_f32_e32 v63, 0xbf3f9e67, v61
	v_add_f32_e32 v19, v19, v54
	v_add_f32_e32 v17, v63, v17
	;; [unrolled: 3-line block ×4, first 2 shown]
	v_add_f32_e32 v18, v69, v17
	v_fma_f32 v17, v72, s13, -v71
	v_fmac_f32_e32 v75, 0x3df6dbef, v73
	v_add_f32_e32 v19, v19, v36
	v_add_f32_e32 v17, v17, v16
	;; [unrolled: 1-line block ×3, first 2 shown]
	v_fma_f32 v18, v31, s10, -v76
	v_add_f32_e32 v15, v19, v38
	v_add_f32_e32 v18, v1, v18
	v_fma_f32 v19, v33, s13, -v77
	v_add_f32_e32 v18, v19, v18
	v_fma_f32 v19, v35, s11, -v78
	;; [unrolled: 2-line block ×4, first 2 shown]
	v_fmac_f32_e32 v81, 0xbf3f9e67, v55
	v_add_f32_e32 v18, v19, v18
	v_add_f32_e32 v19, v0, v81
	v_fmac_f32_e32 v82, 0x3df6dbef, v58
	v_add_f32_e32 v19, v82, v19
	v_fmac_f32_e32 v83, 0x3f116cb1, v61
	;; [unrolled: 2-line block ×4, first 2 shown]
	v_add_f32_e32 v14, v14, v20
	v_add_f32_e32 v20, v85, v19
	v_fma_f32 v19, v72, s12, -v86
	v_fmac_f32_e32 v87, 0xbeb58ec6, v73
	v_add_f32_e32 v19, v19, v18
	v_add_f32_e32 v18, v87, v20
	v_fma_f32 v20, v31, s12, -v88
	v_add_f32_e32 v20, v1, v20
	v_fma_f32 v21, v33, s10, -v89
	;; [unrolled: 2-line block ×5, first 2 shown]
	v_fmac_f32_e32 v93, 0xbeb58ec6, v55
	v_add_f32_e32 v20, v21, v20
	v_add_f32_e32 v21, v0, v93
	v_fmac_f32_e32 v94, 0xbf3f9e67, v58
	v_add_f32_e32 v21, v94, v21
	v_fmac_f32_e32 v95, 0x3f62ad3f, v61
	;; [unrolled: 2-line block ×4, first 2 shown]
	v_add_f32_e32 v14, v14, v22
	v_add_f32_e32 v22, v97, v21
	v_fma_f32 v21, v72, s11, -v98
	v_fmac_f32_e32 v99, 0x3f116cb1, v73
	v_add_f32_e32 v21, v21, v20
	v_add_f32_e32 v20, v99, v22
	v_fma_f32 v22, v31, s13, -v100
	v_add_f32_e32 v22, v1, v22
	v_fma_f32 v23, v33, s6, -v101
	;; [unrolled: 2-line block ×5, first 2 shown]
	v_fmac_f32_e32 v105, 0x3df6dbef, v55
	v_add_f32_e32 v22, v23, v22
	v_add_f32_e32 v23, v0, v105
	v_fmac_f32_e32 v106, 0xbf788fa5, v58
	v_add_f32_e32 v23, v106, v23
	v_fmac_f32_e32 v107, 0xbeb58ec6, v61
	;; [unrolled: 2-line block ×4, first 2 shown]
	v_add_f32_e32 v25, v109, v23
	v_fma_f32 v23, v72, s10, -v110
	v_fmac_f32_e32 v111, 0xbf3f9e67, v73
	v_add_f32_e32 v23, v23, v22
	v_add_f32_e32 v22, v111, v25
	v_fma_f32 v25, v31, s11, -v112
	v_add_f32_e32 v14, v14, v28
	v_add_f32_e32 v25, v1, v25
	v_fma_f32 v28, v33, s12, -v113
	v_add_f32_e32 v25, v28, v25
	v_fma_f32 v28, v35, s6, -v114
	;; [unrolled: 2-line block ×4, first 2 shown]
	v_fmac_f32_e32 v117, 0x3f116cb1, v55
	v_add_f32_e32 v25, v28, v25
	v_add_f32_e32 v28, v0, v117
	v_fmac_f32_e32 v118, 0xbeb58ec6, v58
	v_add_f32_e32 v28, v118, v28
	v_fma_f32 v29, v72, s7, -v123
	v_fmac_f32_e32 v119, 0xbf788fa5, v61
	v_add_f32_e32 v29, v29, v25
	v_add_f32_e32 v25, v119, v28
	v_fmac_f32_e32 v120, 0xbf3f9e67, v64
	v_add_f32_e32 v25, v120, v25
	v_fmac_f32_e32 v121, 0x3df6dbef, v67
	;; [unrolled: 2-line block ×3, first 2 shown]
	v_add_f32_e32 v28, v124, v25
	v_fma_f32 v25, v31, s7, -v122
	v_fmac_f32_e32 v56, 0x3f62ad3f, v55
	v_add_f32_e32 v1, v1, v25
	v_fma_f32 v25, v33, s11, -v125
	v_add_f32_e32 v0, v0, v56
	v_fmac_f32_e32 v59, 0x3f116cb1, v58
	ds_write2_b64 v30, v[14:15], v[12:13] offset1:100
	v_add_u32_e32 v12, 0x400, v30
	v_add_f32_e32 v1, v25, v1
	v_fma_f32 v25, v35, s13, -v126
	v_add_f32_e32 v0, v59, v0
	v_fmac_f32_e32 v62, 0x3df6dbef, v61
	ds_write2_b64 v12, v[10:11], v[8:9] offset0:72 offset1:172
	v_add_u32_e32 v8, 0x800, v30
	v_add_f32_e32 v1, v25, v1
	v_fma_f32 v25, v39, s12, -v37
	v_add_f32_e32 v0, v62, v0
	v_fmac_f32_e32 v65, 0xbeb58ec6, v64
	ds_write2_b64 v8, v[6:7], v[4:5] offset0:144 offset1:244
	;; [unrolled: 6-line block ×4, first 2 shown]
	v_add_u32_e32 v2, 0x1c00, v30
	v_add_f32_e32 v1, v25, v1
	v_add_f32_e32 v0, v74, v0
	ds_write2_b64 v2, v[22:23], v[28:29] offset0:104 offset1:204
	ds_write_b64 v30, v[0:1] offset:9600
.LBB0_15:
	s_or_b64 exec, exec, s[4:5]
	s_waitcnt lgkmcnt(0)
	s_barrier
	ds_read_b64 v[0:1], v30
	s_add_u32 s6, s8, 0x2850
	v_lshlrev_b32_e32 v2, 3, v24
	s_addc_u32 s7, s9, 0
	v_sub_u32_e32 v6, 0, v2
	v_cmp_ne_u32_e32 vcc, 0, v24
                                        ; implicit-def: $vgpr2
                                        ; implicit-def: $vgpr7
                                        ; implicit-def: $vgpr8
                                        ; implicit-def: $vgpr4_vgpr5
	s_and_saveexec_b64 s[4:5], vcc
	s_xor_b64 s[4:5], exec, s[4:5]
	s_cbranch_execz .LBB0_17
; %bb.16:
	v_mov_b32_e32 v25, 0
	v_lshlrev_b64 v[2:3], 3, v[24:25]
	v_mov_b32_e32 v4, s7
	v_add_co_u32_e32 v2, vcc, s6, v2
	v_addc_co_u32_e32 v3, vcc, v4, v3, vcc
	global_load_dwordx2 v[2:3], v[2:3], off
	ds_read_b64 v[4:5], v6 offset:10400
	s_waitcnt lgkmcnt(0)
	v_add_f32_e32 v9, v4, v0
	v_sub_f32_e32 v0, v0, v4
	v_add_f32_e32 v7, v5, v1
	v_sub_f32_e32 v1, v1, v5
	v_mul_f32_e32 v0, 0.5, v0
	v_mul_f32_e32 v4, 0.5, v7
	;; [unrolled: 1-line block ×3, first 2 shown]
	s_waitcnt vmcnt(0)
	v_mul_f32_e32 v5, v3, v0
	v_fma_f32 v8, v4, v3, v1
	v_fma_f32 v1, v4, v3, -v1
	v_fma_f32 v7, 0.5, v9, v5
	v_fma_f32 v5, v9, 0.5, -v5
	v_fma_f32 v8, -v2, v0, v8
	v_fma_f32 v3, -v2, v0, v1
	v_fmac_f32_e32 v7, v2, v4
	v_fma_f32 v2, -v2, v4, v5
	v_mov_b32_e32 v4, v24
	v_mov_b32_e32 v5, v25
                                        ; implicit-def: $vgpr0_vgpr1
.LBB0_17:
	s_andn2_saveexec_b64 s[4:5], s[4:5]
	s_cbranch_execz .LBB0_19
; %bb.18:
	v_mov_b32_e32 v8, 0
	ds_read_b32 v3, v8 offset:5204
	v_mov_b32_e32 v4, 0
	s_waitcnt lgkmcnt(1)
	v_add_f32_e32 v7, v0, v1
	v_sub_f32_e32 v2, v0, v1
	v_mov_b32_e32 v5, 0
	s_waitcnt lgkmcnt(0)
	v_xor_b32_e32 v0, 0x80000000, v3
	v_mov_b32_e32 v3, 0
	ds_write_b32 v8, v0 offset:5204
.LBB0_19:
	s_or_b64 exec, exec, s[4:5]
	s_waitcnt lgkmcnt(0)
	v_lshlrev_b64 v[0:1], 3, v[4:5]
	v_mov_b32_e32 v5, s7
	v_add_co_u32_e32 v4, vcc, s6, v0
	v_addc_co_u32_e32 v5, vcc, v5, v1, vcc
	global_load_dwordx2 v[9:10], v[4:5], off offset:1040
	global_load_dwordx2 v[11:12], v[4:5], off offset:2080
	;; [unrolled: 1-line block ×3, first 2 shown]
	s_movk_i32 s4, 0x1000
	v_add_co_u32_e32 v4, vcc, s4, v4
	ds_write2_b32 v30, v7, v8 offset1:1
	ds_write_b64 v6, v[2:3] offset:10400
	v_addc_co_u32_e32 v5, vcc, 0, v5, vcc
	ds_read_b64 v[2:3], v30 offset:1040
	ds_read_b64 v[7:8], v6 offset:9360
	global_load_dwordx2 v[15:16], v[4:5], off offset:64
	v_add_u32_e32 v17, 0x400, v30
	s_waitcnt lgkmcnt(0)
	v_add_f32_e32 v4, v2, v7
	v_sub_f32_e32 v2, v2, v7
	v_add_f32_e32 v5, v3, v8
	v_sub_f32_e32 v3, v3, v8
	v_mul_f32_e32 v2, 0.5, v2
	v_mul_f32_e32 v5, 0.5, v5
	;; [unrolled: 1-line block ×3, first 2 shown]
	s_waitcnt vmcnt(3)
	v_mul_f32_e32 v7, v10, v2
	v_fma_f32 v8, v5, v10, v3
	v_fma_f32 v3, v5, v10, -v3
	v_fma_f32 v10, 0.5, v4, v7
	v_fma_f32 v8, -v9, v2, v8
	v_fma_f32 v4, v4, 0.5, -v7
	v_fmac_f32_e32 v10, v9, v5
	v_fma_f32 v3, -v9, v2, v3
	v_fma_f32 v2, -v9, v5, v4
	ds_write2_b32 v17, v10, v8 offset0:4 offset1:5
	ds_write_b64 v6, v[2:3] offset:9360
	ds_read_b64 v[3:4], v30 offset:2080
	ds_read_b64 v[7:8], v6 offset:8320
	v_add_u32_e32 v2, 0x800, v30
	s_waitcnt lgkmcnt(0)
	v_add_f32_e32 v5, v3, v7
	v_sub_f32_e32 v3, v3, v7
	v_add_f32_e32 v9, v4, v8
	v_sub_f32_e32 v4, v4, v8
	v_mul_f32_e32 v3, 0.5, v3
	v_mul_f32_e32 v7, 0.5, v9
	v_mul_f32_e32 v4, 0.5, v4
	s_waitcnt vmcnt(2)
	v_mul_f32_e32 v8, v12, v3
	v_fma_f32 v9, v7, v12, v4
	v_fma_f32 v10, 0.5, v5, v8
	v_fma_f32 v4, v7, v12, -v4
	v_fma_f32 v9, -v11, v3, v9
	v_fma_f32 v5, v5, 0.5, -v8
	v_fmac_f32_e32 v10, v11, v7
	v_fma_f32 v4, -v11, v3, v4
	v_fma_f32 v3, -v11, v7, v5
	ds_write2_b32 v2, v10, v9 offset0:8 offset1:9
	ds_write_b64 v6, v[3:4] offset:8320
	ds_read_b64 v[3:4], v30 offset:3120
	ds_read_b64 v[7:8], v6 offset:7280
	v_add_u32_e32 v5, 0xc00, v30
	s_waitcnt lgkmcnt(0)
	v_add_f32_e32 v9, v3, v7
	v_sub_f32_e32 v3, v3, v7
	v_add_f32_e32 v10, v4, v8
	v_sub_f32_e32 v4, v4, v8
	v_mul_f32_e32 v3, 0.5, v3
	v_mul_f32_e32 v7, 0.5, v10
	v_mul_f32_e32 v4, 0.5, v4
	s_waitcnt vmcnt(1)
	v_mul_f32_e32 v8, v14, v3
	v_fma_f32 v10, v7, v14, v4
	v_fma_f32 v11, 0.5, v9, v8
	v_fma_f32 v4, v7, v14, -v4
	;; [unrolled: 23-line block ×3, first 2 shown]
	v_fma_f32 v10, -v15, v3, v10
	v_fma_f32 v8, v9, 0.5, -v8
	v_fmac_f32_e32 v11, v15, v7
	v_fma_f32 v4, -v15, v3, v4
	v_fma_f32 v3, -v15, v7, v8
	ds_write2_b32 v5, v11, v10 offset0:16 offset1:17
	ds_write_b64 v6, v[3:4] offset:6240
	s_waitcnt lgkmcnt(0)
	s_barrier
	s_and_saveexec_b64 s[6:7], s[0:1]
	s_cbranch_execz .LBB0_22
; %bb.20:
	ds_read2_b64 v[6:9], v30 offset1:130
	v_mov_b32_e32 v3, s3
	v_add_co_u32_e32 v4, vcc, s2, v26
	v_addc_co_u32_e32 v3, vcc, v3, v27, vcc
	ds_read2_b64 v[10:13], v2 offset0:4 offset1:134
	v_add_co_u32_e32 v0, vcc, v4, v0
	v_addc_co_u32_e32 v1, vcc, v3, v1, vcc
	s_waitcnt lgkmcnt(1)
	global_store_dwordx2 v[0:1], v[6:7], off
	global_store_dwordx2 v[0:1], v[8:9], off offset:1040
	s_waitcnt lgkmcnt(0)
	global_store_dwordx2 v[0:1], v[10:11], off offset:2080
	global_store_dwordx2 v[0:1], v[12:13], off offset:3120
	ds_read2_b64 v[5:8], v5 offset0:8 offset1:138
	v_add_u32_e32 v2, 0x1800, v30
	ds_read2_b64 v[9:12], v2 offset0:12 offset1:142
	v_add_co_u32_e32 v13, vcc, s4, v0
	v_addc_co_u32_e32 v14, vcc, 0, v1, vcc
	s_waitcnt lgkmcnt(1)
	global_store_dwordx2 v[13:14], v[5:6], off offset:64
	global_store_dwordx2 v[13:14], v[7:8], off offset:1104
	s_waitcnt lgkmcnt(0)
	global_store_dwordx2 v[13:14], v[9:10], off offset:2144
	global_store_dwordx2 v[13:14], v[11:12], off offset:3184
	v_add_u32_e32 v2, 0x2000, v30
	ds_read2_b64 v[5:8], v2 offset0:16 offset1:146
	v_add_co_u32_e32 v0, vcc, 0x2000, v0
	v_addc_co_u32_e32 v1, vcc, 0, v1, vcc
	s_movk_i32 s0, 0x81
	v_cmp_eq_u32_e32 vcc, s0, v24
	s_waitcnt lgkmcnt(0)
	global_store_dwordx2 v[0:1], v[5:6], off offset:128
	global_store_dwordx2 v[0:1], v[7:8], off offset:1168
	s_and_b64 exec, exec, vcc
	s_cbranch_execz .LBB0_22
; %bb.21:
	v_mov_b32_e32 v0, 0
	ds_read_b64 v[0:1], v0 offset:10400
	v_add_co_u32_e32 v2, vcc, 0x2000, v4
	v_addc_co_u32_e32 v3, vcc, 0, v3, vcc
	s_waitcnt lgkmcnt(0)
	global_store_dwordx2 v[2:3], v[0:1], off offset:2208
.LBB0_22:
	s_endpgm
	.section	.rodata,"a",@progbits
	.p2align	6, 0x0
	.amdhsa_kernel fft_rtc_fwd_len1300_factors_10_10_13_wgs_130_tpt_130_sp_ip_CI_unitstride_sbrr_R2C_dirReg
		.amdhsa_group_segment_fixed_size 0
		.amdhsa_private_segment_fixed_size 0
		.amdhsa_kernarg_size 88
		.amdhsa_user_sgpr_count 6
		.amdhsa_user_sgpr_private_segment_buffer 1
		.amdhsa_user_sgpr_dispatch_ptr 0
		.amdhsa_user_sgpr_queue_ptr 0
		.amdhsa_user_sgpr_kernarg_segment_ptr 1
		.amdhsa_user_sgpr_dispatch_id 0
		.amdhsa_user_sgpr_flat_scratch_init 0
		.amdhsa_user_sgpr_private_segment_size 0
		.amdhsa_uses_dynamic_stack 0
		.amdhsa_system_sgpr_private_segment_wavefront_offset 0
		.amdhsa_system_sgpr_workgroup_id_x 1
		.amdhsa_system_sgpr_workgroup_id_y 0
		.amdhsa_system_sgpr_workgroup_id_z 0
		.amdhsa_system_sgpr_workgroup_info 0
		.amdhsa_system_vgpr_workitem_id 0
		.amdhsa_next_free_vgpr 127
		.amdhsa_next_free_sgpr 22
		.amdhsa_reserve_vcc 1
		.amdhsa_reserve_flat_scratch 0
		.amdhsa_float_round_mode_32 0
		.amdhsa_float_round_mode_16_64 0
		.amdhsa_float_denorm_mode_32 3
		.amdhsa_float_denorm_mode_16_64 3
		.amdhsa_dx10_clamp 1
		.amdhsa_ieee_mode 1
		.amdhsa_fp16_overflow 0
		.amdhsa_exception_fp_ieee_invalid_op 0
		.amdhsa_exception_fp_denorm_src 0
		.amdhsa_exception_fp_ieee_div_zero 0
		.amdhsa_exception_fp_ieee_overflow 0
		.amdhsa_exception_fp_ieee_underflow 0
		.amdhsa_exception_fp_ieee_inexact 0
		.amdhsa_exception_int_div_zero 0
	.end_amdhsa_kernel
	.text
.Lfunc_end0:
	.size	fft_rtc_fwd_len1300_factors_10_10_13_wgs_130_tpt_130_sp_ip_CI_unitstride_sbrr_R2C_dirReg, .Lfunc_end0-fft_rtc_fwd_len1300_factors_10_10_13_wgs_130_tpt_130_sp_ip_CI_unitstride_sbrr_R2C_dirReg
                                        ; -- End function
	.section	.AMDGPU.csdata,"",@progbits
; Kernel info:
; codeLenInByte = 8220
; NumSgprs: 26
; NumVgprs: 127
; ScratchSize: 0
; MemoryBound: 0
; FloatMode: 240
; IeeeMode: 1
; LDSByteSize: 0 bytes/workgroup (compile time only)
; SGPRBlocks: 3
; VGPRBlocks: 31
; NumSGPRsForWavesPerEU: 26
; NumVGPRsForWavesPerEU: 127
; Occupancy: 2
; WaveLimiterHint : 1
; COMPUTE_PGM_RSRC2:SCRATCH_EN: 0
; COMPUTE_PGM_RSRC2:USER_SGPR: 6
; COMPUTE_PGM_RSRC2:TRAP_HANDLER: 0
; COMPUTE_PGM_RSRC2:TGID_X_EN: 1
; COMPUTE_PGM_RSRC2:TGID_Y_EN: 0
; COMPUTE_PGM_RSRC2:TGID_Z_EN: 0
; COMPUTE_PGM_RSRC2:TIDIG_COMP_CNT: 0
	.type	__hip_cuid_8932d648d71e87fa,@object ; @__hip_cuid_8932d648d71e87fa
	.section	.bss,"aw",@nobits
	.globl	__hip_cuid_8932d648d71e87fa
__hip_cuid_8932d648d71e87fa:
	.byte	0                               ; 0x0
	.size	__hip_cuid_8932d648d71e87fa, 1

	.ident	"AMD clang version 19.0.0git (https://github.com/RadeonOpenCompute/llvm-project roc-6.4.0 25133 c7fe45cf4b819c5991fe208aaa96edf142730f1d)"
	.section	".note.GNU-stack","",@progbits
	.addrsig
	.addrsig_sym __hip_cuid_8932d648d71e87fa
	.amdgpu_metadata
---
amdhsa.kernels:
  - .args:
      - .actual_access:  read_only
        .address_space:  global
        .offset:         0
        .size:           8
        .value_kind:     global_buffer
      - .offset:         8
        .size:           8
        .value_kind:     by_value
      - .actual_access:  read_only
        .address_space:  global
        .offset:         16
        .size:           8
        .value_kind:     global_buffer
      - .actual_access:  read_only
        .address_space:  global
        .offset:         24
        .size:           8
        .value_kind:     global_buffer
      - .offset:         32
        .size:           8
        .value_kind:     by_value
      - .actual_access:  read_only
        .address_space:  global
        .offset:         40
        .size:           8
        .value_kind:     global_buffer
      - .actual_access:  read_only
        .address_space:  global
        .offset:         48
        .size:           8
        .value_kind:     global_buffer
      - .offset:         56
        .size:           4
        .value_kind:     by_value
      - .actual_access:  read_only
        .address_space:  global
        .offset:         64
        .size:           8
        .value_kind:     global_buffer
      - .actual_access:  read_only
        .address_space:  global
        .offset:         72
        .size:           8
        .value_kind:     global_buffer
      - .address_space:  global
        .offset:         80
        .size:           8
        .value_kind:     global_buffer
    .group_segment_fixed_size: 0
    .kernarg_segment_align: 8
    .kernarg_segment_size: 88
    .language:       OpenCL C
    .language_version:
      - 2
      - 0
    .max_flat_workgroup_size: 130
    .name:           fft_rtc_fwd_len1300_factors_10_10_13_wgs_130_tpt_130_sp_ip_CI_unitstride_sbrr_R2C_dirReg
    .private_segment_fixed_size: 0
    .sgpr_count:     26
    .sgpr_spill_count: 0
    .symbol:         fft_rtc_fwd_len1300_factors_10_10_13_wgs_130_tpt_130_sp_ip_CI_unitstride_sbrr_R2C_dirReg.kd
    .uniform_work_group_size: 1
    .uses_dynamic_stack: false
    .vgpr_count:     127
    .vgpr_spill_count: 0
    .wavefront_size: 64
amdhsa.target:   amdgcn-amd-amdhsa--gfx906
amdhsa.version:
  - 1
  - 2
...

	.end_amdgpu_metadata
